;; amdgpu-corpus repo=ROCm/rocFFT kind=compiled arch=gfx1201 opt=O3
	.text
	.amdgcn_target "amdgcn-amd-amdhsa--gfx1201"
	.amdhsa_code_object_version 6
	.protected	fft_rtc_fwd_len968_factors_2_2_2_11_11_wgs_176_tpt_88_dp_ip_CI_unitstride_sbrr_dirReg ; -- Begin function fft_rtc_fwd_len968_factors_2_2_2_11_11_wgs_176_tpt_88_dp_ip_CI_unitstride_sbrr_dirReg
	.globl	fft_rtc_fwd_len968_factors_2_2_2_11_11_wgs_176_tpt_88_dp_ip_CI_unitstride_sbrr_dirReg
	.p2align	8
	.type	fft_rtc_fwd_len968_factors_2_2_2_11_11_wgs_176_tpt_88_dp_ip_CI_unitstride_sbrr_dirReg,@function
fft_rtc_fwd_len968_factors_2_2_2_11_11_wgs_176_tpt_88_dp_ip_CI_unitstride_sbrr_dirReg: ; @fft_rtc_fwd_len968_factors_2_2_2_11_11_wgs_176_tpt_88_dp_ip_CI_unitstride_sbrr_dirReg
; %bb.0:
	s_clause 0x2
	s_load_b128 s[4:7], s[0:1], 0x0
	s_load_b64 s[8:9], s[0:1], 0x50
	s_load_b64 s[10:11], s[0:1], 0x18
	v_mul_u32_u24_e32 v1, 0x2e9, v0
	v_mov_b32_e32 v3, 0
	s_delay_alu instid0(VALU_DEP_2) | instskip(SKIP_2) | instid1(VALU_DEP_4)
	v_lshrrev_b32_e32 v48, 16, v1
	v_mov_b32_e32 v1, 0
	v_mov_b32_e32 v2, 0
	;; [unrolled: 1-line block ×3, first 2 shown]
	s_delay_alu instid0(VALU_DEP_4) | instskip(SKIP_2) | instid1(VALU_DEP_1)
	v_lshl_add_u32 v5, ttmp9, 1, v48
	s_wait_kmcnt 0x0
	v_cmp_lt_u64_e64 s2, s[6:7], 2
	s_and_b32 vcc_lo, exec_lo, s2
	s_cbranch_vccnz .LBB0_8
; %bb.1:
	s_load_b64 s[2:3], s[0:1], 0x10
	v_mov_b32_e32 v1, 0
	v_mov_b32_e32 v2, 0
	s_add_nc_u64 s[12:13], s[10:11], 8
	s_mov_b64 s[14:15], 1
	s_wait_kmcnt 0x0
	s_add_nc_u64 s[16:17], s[2:3], 8
	s_mov_b32 s3, 0
.LBB0_2:                                ; =>This Inner Loop Header: Depth=1
	s_load_b64 s[18:19], s[16:17], 0x0
                                        ; implicit-def: $vgpr7_vgpr8
	s_mov_b32 s2, exec_lo
	s_wait_kmcnt 0x0
	v_or_b32_e32 v4, s19, v6
	s_delay_alu instid0(VALU_DEP_1)
	v_cmpx_ne_u64_e32 0, v[3:4]
	s_wait_alu 0xfffe
	s_xor_b32 s20, exec_lo, s2
	s_cbranch_execz .LBB0_4
; %bb.3:                                ;   in Loop: Header=BB0_2 Depth=1
	s_cvt_f32_u32 s2, s18
	s_cvt_f32_u32 s21, s19
	s_sub_nc_u64 s[24:25], 0, s[18:19]
	s_wait_alu 0xfffe
	s_delay_alu instid0(SALU_CYCLE_1) | instskip(SKIP_1) | instid1(SALU_CYCLE_2)
	s_fmamk_f32 s2, s21, 0x4f800000, s2
	s_wait_alu 0xfffe
	v_s_rcp_f32 s2, s2
	s_delay_alu instid0(TRANS32_DEP_1) | instskip(SKIP_1) | instid1(SALU_CYCLE_2)
	s_mul_f32 s2, s2, 0x5f7ffffc
	s_wait_alu 0xfffe
	s_mul_f32 s21, s2, 0x2f800000
	s_wait_alu 0xfffe
	s_delay_alu instid0(SALU_CYCLE_2) | instskip(SKIP_1) | instid1(SALU_CYCLE_2)
	s_trunc_f32 s21, s21
	s_wait_alu 0xfffe
	s_fmamk_f32 s2, s21, 0xcf800000, s2
	s_cvt_u32_f32 s23, s21
	s_wait_alu 0xfffe
	s_delay_alu instid0(SALU_CYCLE_1) | instskip(SKIP_1) | instid1(SALU_CYCLE_2)
	s_cvt_u32_f32 s22, s2
	s_wait_alu 0xfffe
	s_mul_u64 s[26:27], s[24:25], s[22:23]
	s_wait_alu 0xfffe
	s_mul_hi_u32 s29, s22, s27
	s_mul_i32 s28, s22, s27
	s_mul_hi_u32 s2, s22, s26
	s_mul_i32 s30, s23, s26
	s_wait_alu 0xfffe
	s_add_nc_u64 s[28:29], s[2:3], s[28:29]
	s_mul_hi_u32 s21, s23, s26
	s_mul_hi_u32 s31, s23, s27
	s_add_co_u32 s2, s28, s30
	s_wait_alu 0xfffe
	s_add_co_ci_u32 s2, s29, s21
	s_mul_i32 s26, s23, s27
	s_add_co_ci_u32 s27, s31, 0
	s_wait_alu 0xfffe
	s_add_nc_u64 s[26:27], s[2:3], s[26:27]
	s_wait_alu 0xfffe
	v_add_co_u32 v4, s2, s22, s26
	s_delay_alu instid0(VALU_DEP_1) | instskip(SKIP_1) | instid1(VALU_DEP_1)
	s_cmp_lg_u32 s2, 0
	s_add_co_ci_u32 s23, s23, s27
	v_readfirstlane_b32 s22, v4
	s_wait_alu 0xfffe
	s_delay_alu instid0(VALU_DEP_1)
	s_mul_u64 s[24:25], s[24:25], s[22:23]
	s_wait_alu 0xfffe
	s_mul_hi_u32 s27, s22, s25
	s_mul_i32 s26, s22, s25
	s_mul_hi_u32 s2, s22, s24
	s_mul_i32 s28, s23, s24
	s_wait_alu 0xfffe
	s_add_nc_u64 s[26:27], s[2:3], s[26:27]
	s_mul_hi_u32 s21, s23, s24
	s_mul_hi_u32 s22, s23, s25
	s_wait_alu 0xfffe
	s_add_co_u32 s2, s26, s28
	s_add_co_ci_u32 s2, s27, s21
	s_mul_i32 s24, s23, s25
	s_add_co_ci_u32 s25, s22, 0
	s_wait_alu 0xfffe
	s_add_nc_u64 s[24:25], s[2:3], s[24:25]
	s_wait_alu 0xfffe
	v_add_co_u32 v4, s2, v4, s24
	s_delay_alu instid0(VALU_DEP_1) | instskip(SKIP_1) | instid1(VALU_DEP_1)
	s_cmp_lg_u32 s2, 0
	s_add_co_ci_u32 s2, s23, s25
	v_mul_hi_u32 v13, v5, v4
	s_wait_alu 0xfffe
	v_mad_co_u64_u32 v[7:8], null, v5, s2, 0
	v_mad_co_u64_u32 v[9:10], null, v6, v4, 0
	;; [unrolled: 1-line block ×3, first 2 shown]
	s_delay_alu instid0(VALU_DEP_3) | instskip(SKIP_1) | instid1(VALU_DEP_4)
	v_add_co_u32 v4, vcc_lo, v13, v7
	s_wait_alu 0xfffd
	v_add_co_ci_u32_e32 v7, vcc_lo, 0, v8, vcc_lo
	s_delay_alu instid0(VALU_DEP_2) | instskip(SKIP_1) | instid1(VALU_DEP_2)
	v_add_co_u32 v4, vcc_lo, v4, v9
	s_wait_alu 0xfffd
	v_add_co_ci_u32_e32 v4, vcc_lo, v7, v10, vcc_lo
	s_wait_alu 0xfffd
	v_add_co_ci_u32_e32 v7, vcc_lo, 0, v12, vcc_lo
	s_delay_alu instid0(VALU_DEP_2) | instskip(SKIP_1) | instid1(VALU_DEP_2)
	v_add_co_u32 v4, vcc_lo, v4, v11
	s_wait_alu 0xfffd
	v_add_co_ci_u32_e32 v9, vcc_lo, 0, v7, vcc_lo
	s_delay_alu instid0(VALU_DEP_2) | instskip(SKIP_1) | instid1(VALU_DEP_3)
	v_mul_lo_u32 v10, s19, v4
	v_mad_co_u64_u32 v[7:8], null, s18, v4, 0
	v_mul_lo_u32 v11, s18, v9
	s_delay_alu instid0(VALU_DEP_2) | instskip(NEXT) | instid1(VALU_DEP_2)
	v_sub_co_u32 v7, vcc_lo, v5, v7
	v_add3_u32 v8, v8, v11, v10
	s_delay_alu instid0(VALU_DEP_1) | instskip(SKIP_1) | instid1(VALU_DEP_1)
	v_sub_nc_u32_e32 v10, v6, v8
	s_wait_alu 0xfffd
	v_subrev_co_ci_u32_e64 v10, s2, s19, v10, vcc_lo
	v_add_co_u32 v11, s2, v4, 2
	s_wait_alu 0xf1ff
	v_add_co_ci_u32_e64 v12, s2, 0, v9, s2
	v_sub_co_u32 v13, s2, v7, s18
	v_sub_co_ci_u32_e32 v8, vcc_lo, v6, v8, vcc_lo
	s_wait_alu 0xf1ff
	v_subrev_co_ci_u32_e64 v10, s2, 0, v10, s2
	s_delay_alu instid0(VALU_DEP_3) | instskip(NEXT) | instid1(VALU_DEP_3)
	v_cmp_le_u32_e32 vcc_lo, s18, v13
	v_cmp_eq_u32_e64 s2, s19, v8
	s_wait_alu 0xfffd
	v_cndmask_b32_e64 v13, 0, -1, vcc_lo
	v_cmp_le_u32_e32 vcc_lo, s19, v10
	s_wait_alu 0xfffd
	v_cndmask_b32_e64 v14, 0, -1, vcc_lo
	v_cmp_le_u32_e32 vcc_lo, s18, v7
	;; [unrolled: 3-line block ×3, first 2 shown]
	s_wait_alu 0xfffd
	v_cndmask_b32_e64 v15, 0, -1, vcc_lo
	v_cmp_eq_u32_e32 vcc_lo, s19, v10
	s_wait_alu 0xf1ff
	s_delay_alu instid0(VALU_DEP_2)
	v_cndmask_b32_e64 v7, v15, v7, s2
	s_wait_alu 0xfffd
	v_cndmask_b32_e32 v10, v14, v13, vcc_lo
	v_add_co_u32 v13, vcc_lo, v4, 1
	s_wait_alu 0xfffd
	v_add_co_ci_u32_e32 v14, vcc_lo, 0, v9, vcc_lo
	s_delay_alu instid0(VALU_DEP_3) | instskip(SKIP_2) | instid1(VALU_DEP_3)
	v_cmp_ne_u32_e32 vcc_lo, 0, v10
	s_wait_alu 0xfffd
	v_cndmask_b32_e32 v10, v13, v11, vcc_lo
	v_cndmask_b32_e32 v8, v14, v12, vcc_lo
	v_cmp_ne_u32_e32 vcc_lo, 0, v7
	s_wait_alu 0xfffd
	s_delay_alu instid0(VALU_DEP_2)
	v_dual_cndmask_b32 v7, v4, v10 :: v_dual_cndmask_b32 v8, v9, v8
.LBB0_4:                                ;   in Loop: Header=BB0_2 Depth=1
	s_wait_alu 0xfffe
	s_and_not1_saveexec_b32 s2, s20
	s_cbranch_execz .LBB0_6
; %bb.5:                                ;   in Loop: Header=BB0_2 Depth=1
	v_cvt_f32_u32_e32 v4, s18
	s_sub_co_i32 s20, 0, s18
	s_delay_alu instid0(VALU_DEP_1) | instskip(NEXT) | instid1(TRANS32_DEP_1)
	v_rcp_iflag_f32_e32 v4, v4
	v_mul_f32_e32 v4, 0x4f7ffffe, v4
	s_delay_alu instid0(VALU_DEP_1) | instskip(SKIP_1) | instid1(VALU_DEP_1)
	v_cvt_u32_f32_e32 v4, v4
	s_wait_alu 0xfffe
	v_mul_lo_u32 v7, s20, v4
	s_delay_alu instid0(VALU_DEP_1) | instskip(NEXT) | instid1(VALU_DEP_1)
	v_mul_hi_u32 v7, v4, v7
	v_add_nc_u32_e32 v4, v4, v7
	s_delay_alu instid0(VALU_DEP_1) | instskip(NEXT) | instid1(VALU_DEP_1)
	v_mul_hi_u32 v4, v5, v4
	v_mul_lo_u32 v7, v4, s18
	v_add_nc_u32_e32 v8, 1, v4
	s_delay_alu instid0(VALU_DEP_2) | instskip(NEXT) | instid1(VALU_DEP_1)
	v_sub_nc_u32_e32 v7, v5, v7
	v_subrev_nc_u32_e32 v9, s18, v7
	v_cmp_le_u32_e32 vcc_lo, s18, v7
	s_wait_alu 0xfffd
	s_delay_alu instid0(VALU_DEP_2) | instskip(NEXT) | instid1(VALU_DEP_1)
	v_dual_cndmask_b32 v7, v7, v9 :: v_dual_cndmask_b32 v4, v4, v8
	v_cmp_le_u32_e32 vcc_lo, s18, v7
	s_delay_alu instid0(VALU_DEP_2) | instskip(SKIP_1) | instid1(VALU_DEP_1)
	v_add_nc_u32_e32 v8, 1, v4
	s_wait_alu 0xfffd
	v_dual_cndmask_b32 v7, v4, v8 :: v_dual_mov_b32 v8, v3
.LBB0_6:                                ;   in Loop: Header=BB0_2 Depth=1
	s_wait_alu 0xfffe
	s_or_b32 exec_lo, exec_lo, s2
	s_load_b64 s[20:21], s[12:13], 0x0
	s_delay_alu instid0(VALU_DEP_1)
	v_mul_lo_u32 v4, v8, s18
	v_mul_lo_u32 v11, v7, s19
	v_mad_co_u64_u32 v[9:10], null, v7, s18, 0
	s_add_nc_u64 s[14:15], s[14:15], 1
	s_add_nc_u64 s[12:13], s[12:13], 8
	s_wait_alu 0xfffe
	v_cmp_ge_u64_e64 s2, s[14:15], s[6:7]
	s_add_nc_u64 s[16:17], s[16:17], 8
	s_delay_alu instid0(VALU_DEP_2) | instskip(NEXT) | instid1(VALU_DEP_3)
	v_add3_u32 v4, v10, v11, v4
	v_sub_co_u32 v5, vcc_lo, v5, v9
	s_wait_alu 0xfffd
	s_delay_alu instid0(VALU_DEP_2) | instskip(SKIP_3) | instid1(VALU_DEP_2)
	v_sub_co_ci_u32_e32 v4, vcc_lo, v6, v4, vcc_lo
	s_and_b32 vcc_lo, exec_lo, s2
	s_wait_kmcnt 0x0
	v_mul_lo_u32 v6, s21, v5
	v_mul_lo_u32 v4, s20, v4
	v_mad_co_u64_u32 v[1:2], null, s20, v5, v[1:2]
	s_delay_alu instid0(VALU_DEP_1)
	v_add3_u32 v2, v6, v2, v4
	s_wait_alu 0xfffe
	s_cbranch_vccnz .LBB0_9
; %bb.7:                                ;   in Loop: Header=BB0_2 Depth=1
	v_dual_mov_b32 v5, v7 :: v_dual_mov_b32 v6, v8
	s_branch .LBB0_2
.LBB0_8:
	v_dual_mov_b32 v8, v6 :: v_dual_mov_b32 v7, v5
.LBB0_9:
	s_lshl_b64 s[2:3], s[6:7], 3
	v_mul_hi_u32 v3, 0x2e8ba2f, v0
	s_wait_alu 0xfffe
	s_add_nc_u64 s[2:3], s[10:11], s[2:3]
	v_mov_b32_e32 v54, 0
	s_load_b64 s[2:3], s[2:3], 0x0
	s_load_b64 s[0:1], s[0:1], 0x20
                                        ; implicit-def: $vgpr30_vgpr31
                                        ; implicit-def: $vgpr26_vgpr27
                                        ; implicit-def: $vgpr22_vgpr23
                                        ; implicit-def: $vgpr38_vgpr39
                                        ; implicit-def: $vgpr14_vgpr15
                                        ; implicit-def: $vgpr34_vgpr35
                                        ; implicit-def: $vgpr18_vgpr19
                                        ; implicit-def: $vgpr42_vgpr43
                                        ; implicit-def: $vgpr10_vgpr11
                                        ; implicit-def: $vgpr46_vgpr47
	s_delay_alu instid0(VALU_DEP_2) | instskip(NEXT) | instid1(VALU_DEP_1)
	v_mul_u32_u24_e32 v3, 0x58, v3
	v_sub_nc_u32_e32 v55, v0, v3
	s_wait_kmcnt 0x0
	v_mul_lo_u32 v4, s2, v8
	v_mul_lo_u32 v5, s3, v7
	v_mad_co_u64_u32 v[1:2], null, s2, v7, v[1:2]
	v_cmp_gt_u64_e32 vcc_lo, s[0:1], v[7:8]
                                        ; implicit-def: $vgpr6_vgpr7
	s_delay_alu instid0(VALU_DEP_2) | instskip(NEXT) | instid1(VALU_DEP_1)
	v_add3_u32 v2, v5, v2, v4
	v_lshlrev_b64_e32 v[52:53], 4, v[1:2]
                                        ; implicit-def: $vgpr2_vgpr3
	s_and_saveexec_b32 s1, vcc_lo
	s_cbranch_execz .LBB0_13
; %bb.10:
	v_mov_b32_e32 v56, 0
	s_delay_alu instid0(VALU_DEP_2) | instskip(SKIP_2) | instid1(VALU_DEP_3)
	v_add_co_u32 v2, s0, s8, v52
	s_wait_alu 0xf1ff
	v_add_co_ci_u32_e64 v3, s0, s9, v53, s0
	v_lshlrev_b64_e32 v[0:1], 4, v[55:56]
	s_mov_b32 s2, exec_lo
                                        ; implicit-def: $vgpr24_vgpr25
                                        ; implicit-def: $vgpr28_vgpr29
	s_delay_alu instid0(VALU_DEP_1) | instskip(SKIP_1) | instid1(VALU_DEP_2)
	v_add_co_u32 v30, s0, v2, v0
	s_wait_alu 0xf1ff
	v_add_co_ci_u32_e64 v31, s0, v3, v1, s0
	s_clause 0x9
	global_load_b128 v[0:3], v[30:31], off
	global_load_b128 v[8:11], v[30:31], off offset:1408
	global_load_b128 v[40:43], v[30:31], off offset:9152
	global_load_b128 v[32:35], v[30:31], off offset:10560
	global_load_b128 v[16:19], v[30:31], off offset:2816
	global_load_b128 v[12:15], v[30:31], off offset:4224
	global_load_b128 v[44:47], v[30:31], off offset:7744
	global_load_b128 v[20:23], v[30:31], off offset:5632
	global_load_b128 v[36:39], v[30:31], off offset:11968
	global_load_b128 v[4:7], v[30:31], off offset:13376
	v_cmpx_gt_u32_e32 44, v55
; %bb.11:
	s_clause 0x1
	global_load_b128 v[24:27], v[30:31], off offset:7040
	global_load_b128 v[28:31], v[30:31], off offset:14784
; %bb.12:
	s_wait_alu 0xfffe
	s_or_b32 exec_lo, exec_lo, s2
	v_mov_b32_e32 v54, v55
.LBB0_13:
	s_wait_alu 0xfffe
	s_or_b32 exec_lo, exec_lo, s1
	s_wait_loadcnt 0x3
	v_add_f64_e64 v[44:45], v[0:1], -v[44:45]
	v_add_f64_e64 v[46:47], v[2:3], -v[46:47]
	s_wait_loadcnt 0x0
	v_add_f64_e64 v[60:61], v[20:21], -v[4:5]
	v_add_f64_e64 v[62:63], v[22:23], -v[6:7]
	;; [unrolled: 1-line block ×10, first 2 shown]
	v_add_nc_u32_e32 v49, 0x58, v55
	v_add_nc_u32_e32 v50, 0xb0, v55
	;; [unrolled: 1-line block ×4, first 2 shown]
	s_delay_alu instid0(VALU_DEP_1)
	v_lshlrev_b32_e32 v56, 5, v59
	v_fma_f64 v[28:29], v[0:1], 2.0, -v[44:45]
	v_fma_f64 v[30:31], v[2:3], 2.0, -v[46:47]
	;; [unrolled: 1-line block ×12, first 2 shown]
	v_and_b32_e32 v24, 1, v48
	v_lshlrev_b32_e32 v25, 5, v55
	v_lshlrev_b32_e32 v26, 5, v50
	v_add_nc_u32_e32 v48, 0x1b8, v55
	v_lshlrev_b32_e32 v27, 5, v51
	v_cmp_eq_u32_e64 s0, 1, v24
	s_wait_alu 0xf1ff
	s_delay_alu instid0(VALU_DEP_1) | instskip(SKIP_1) | instid1(VALU_DEP_2)
	v_cndmask_b32_e64 v24, 0, 0x3c8, s0
	v_cmp_gt_u32_e64 s0, 44, v55
	v_lshlrev_b32_e32 v58, 4, v24
	v_lshlrev_b32_e32 v24, 5, v49
	s_delay_alu instid0(VALU_DEP_2) | instskip(NEXT) | instid1(VALU_DEP_2)
	v_add3_u32 v25, 0, v25, v58
	v_add3_u32 v24, 0, v24, v58
	;; [unrolled: 1-line block ×5, first 2 shown]
	ds_store_b128 v25, v[28:31]
	ds_store_b128 v25, v[44:47] offset:16
	ds_store_b128 v24, v[8:11]
	ds_store_b128 v24, v[40:43] offset:16
	;; [unrolled: 2-line block ×5, first 2 shown]
	s_and_saveexec_b32 s1, s0
	s_cbranch_execz .LBB0_15
; %bb.14:
	v_lshlrev_b32_e32 v8, 5, v48
	s_delay_alu instid0(VALU_DEP_1)
	v_add3_u32 v8, 0, v8, v58
	ds_store_b128 v8, v[0:3]
	ds_store_b128 v8, v[4:7] offset:16
.LBB0_15:
	s_wait_alu 0xfffe
	s_or_b32 exec_lo, exec_lo, s1
	v_lshlrev_b32_e32 v8, 4, v55
	global_wb scope:SCOPE_SE
	s_wait_dscnt 0x0
	s_barrier_signal -1
	s_barrier_wait -1
	global_inv scope:SCOPE_SE
	v_add3_u32 v57, 0, v58, v8
	v_add3_u32 v56, 0, v8, v58
	v_lshlrev_b32_e32 v63, 1, v55
	v_lshlrev_b32_e32 v62, 1, v49
	;; [unrolled: 1-line block ×3, first 2 shown]
	ds_load_b128 v[8:11], v57
	ds_load_b128 v[12:15], v56 offset:1408
	ds_load_b128 v[28:31], v56 offset:9152
	;; [unrolled: 1-line block ×9, first 2 shown]
	v_lshlrev_b32_e32 v60, 1, v51
	v_lshlrev_b32_e32 v59, 1, v59
	s_and_saveexec_b32 s1, s0
	s_cbranch_execz .LBB0_17
; %bb.16:
	ds_load_b128 v[0:3], v56 offset:7040
	ds_load_b128 v[4:7], v56 offset:14784
.LBB0_17:
	s_wait_alu 0xfffe
	s_or_b32 exec_lo, exec_lo, s1
	v_and_b32_e32 v49, 1, v55
	s_delay_alu instid0(VALU_DEP_1)
	v_lshlrev_b32_e32 v50, 4, v49
	global_load_b128 v[64:67], v50, s[4:5]
	global_wb scope:SCOPE_SE
	s_wait_loadcnt_dscnt 0x0
	s_barrier_signal -1
	s_barrier_wait -1
	global_inv scope:SCOPE_SE
	v_mul_f64_e32 v[50:51], v[46:47], v[66:67]
	v_mul_f64_e32 v[68:69], v[44:45], v[66:67]
	;; [unrolled: 1-line block ×12, first 2 shown]
	v_fma_f64 v[44:45], v[44:45], v[64:65], -v[50:51]
	v_fma_f64 v[46:47], v[46:47], v[64:65], v[68:69]
	v_fma_f64 v[50:51], v[28:29], v[64:65], -v[70:71]
	v_fma_f64 v[68:69], v[30:31], v[64:65], v[72:73]
	;; [unrolled: 2-line block ×6, first 2 shown]
	v_lshlrev_b32_e32 v64, 1, v48
	v_and_or_b32 v48, 0xfc, v63, v49
	v_and_or_b32 v65, 0x3fc, v60, v49
	;; [unrolled: 1-line block ×3, first 2 shown]
	s_delay_alu instid0(VALU_DEP_3) | instskip(NEXT) | instid1(VALU_DEP_3)
	v_lshlrev_b32_e32 v48, 4, v48
	v_lshlrev_b32_e32 v65, 4, v65
	s_delay_alu instid0(VALU_DEP_3) | instskip(NEXT) | instid1(VALU_DEP_3)
	v_lshlrev_b32_e32 v66, 4, v66
	v_add3_u32 v48, 0, v48, v58
	s_delay_alu instid0(VALU_DEP_3) | instskip(NEXT) | instid1(VALU_DEP_3)
	v_add3_u32 v65, 0, v65, v58
	v_add3_u32 v66, 0, v66, v58
	v_add_f64_e64 v[28:29], v[8:9], -v[44:45]
	v_add_f64_e64 v[30:31], v[10:11], -v[46:47]
	;; [unrolled: 1-line block ×12, first 2 shown]
	v_and_or_b32 v50, 0x1fc, v62, v49
	v_and_or_b32 v51, 0x3fc, v61, v49
	s_delay_alu instid0(VALU_DEP_2) | instskip(NEXT) | instid1(VALU_DEP_2)
	v_lshlrev_b32_e32 v50, 4, v50
	v_lshlrev_b32_e32 v51, 4, v51
	s_delay_alu instid0(VALU_DEP_2) | instskip(NEXT) | instid1(VALU_DEP_2)
	v_add3_u32 v50, 0, v50, v58
	v_add3_u32 v51, 0, v51, v58
	v_fma_f64 v[8:9], v[8:9], 2.0, -v[28:29]
	v_fma_f64 v[10:11], v[10:11], 2.0, -v[30:31]
	;; [unrolled: 1-line block ×12, first 2 shown]
	ds_store_b128 v48, v[8:11]
	ds_store_b128 v48, v[28:31] offset:32
	ds_store_b128 v50, v[12:15]
	ds_store_b128 v50, v[32:35] offset:32
	;; [unrolled: 2-line block ×5, first 2 shown]
	s_and_saveexec_b32 s1, s0
	s_cbranch_execz .LBB0_19
; %bb.18:
	v_and_or_b32 v8, 0x3fc, v64, v49
	s_delay_alu instid0(VALU_DEP_1) | instskip(NEXT) | instid1(VALU_DEP_1)
	v_lshlrev_b32_e32 v8, 4, v8
	v_add3_u32 v8, 0, v8, v58
	ds_store_b128 v8, v[0:3]
	ds_store_b128 v8, v[4:7] offset:32
.LBB0_19:
	s_wait_alu 0xfffe
	s_or_b32 exec_lo, exec_lo, s1
	global_wb scope:SCOPE_SE
	s_wait_dscnt 0x0
	s_barrier_signal -1
	s_barrier_wait -1
	global_inv scope:SCOPE_SE
	ds_load_b128 v[12:15], v57
	ds_load_b128 v[16:19], v56 offset:1408
	ds_load_b128 v[32:35], v56 offset:9152
	;; [unrolled: 1-line block ×9, first 2 shown]
	s_and_saveexec_b32 s1, s0
	s_cbranch_execz .LBB0_21
; %bb.20:
	ds_load_b128 v[0:3], v56 offset:7040
	ds_load_b128 v[4:7], v56 offset:14784
.LBB0_21:
	s_wait_alu 0xfffe
	s_or_b32 exec_lo, exec_lo, s1
	v_and_b32_e32 v65, 3, v55
	s_delay_alu instid0(VALU_DEP_1)
	v_lshlrev_b32_e32 v28, 4, v65
	v_and_or_b32 v63, 0xf8, v63, v65
	v_and_or_b32 v62, 0x1f8, v62, v65
	;; [unrolled: 1-line block ×4, first 2 shown]
	global_load_b128 v[28:31], v28, s[4:5] offset:32
	v_and_or_b32 v59, 0x3f8, v59, v65
	v_lshlrev_b32_e32 v63, 4, v63
	v_lshlrev_b32_e32 v62, 4, v62
	;; [unrolled: 1-line block ×5, first 2 shown]
	v_add3_u32 v63, 0, v63, v58
	v_add3_u32 v62, 0, v62, v58
	;; [unrolled: 1-line block ×3, first 2 shown]
	global_wb scope:SCOPE_SE
	s_wait_loadcnt_dscnt 0x0
	s_barrier_signal -1
	s_barrier_wait -1
	global_inv scope:SCOPE_SE
	v_add3_u32 v60, 0, v60, v58
	v_add3_u32 v59, 0, v59, v58
	v_mul_f64_e32 v[66:67], v[50:51], v[30:31]
	v_mul_f64_e32 v[68:69], v[48:49], v[30:31]
	;; [unrolled: 1-line block ×10, first 2 shown]
	v_fma_f64 v[48:49], v[48:49], v[28:29], -v[66:67]
	v_fma_f64 v[50:51], v[50:51], v[28:29], v[68:69]
	v_fma_f64 v[66:67], v[32:33], v[28:29], -v[70:71]
	v_fma_f64 v[68:69], v[34:35], v[28:29], v[72:73]
	;; [unrolled: 2-line block ×5, first 2 shown]
	v_add_f64_e64 v[32:33], v[12:13], -v[48:49]
	v_add_f64_e64 v[34:35], v[14:15], -v[50:51]
	;; [unrolled: 1-line block ×10, first 2 shown]
	v_fma_f64 v[12:13], v[12:13], 2.0, -v[32:33]
	v_fma_f64 v[14:15], v[14:15], 2.0, -v[34:35]
	;; [unrolled: 1-line block ×10, first 2 shown]
	ds_store_b128 v63, v[12:15]
	ds_store_b128 v63, v[32:35] offset:64
	ds_store_b128 v62, v[16:19]
	ds_store_b128 v62, v[36:39] offset:64
	ds_store_b128 v61, v[24:27]
	ds_store_b128 v61, v[40:43] offset:64
	ds_store_b128 v60, v[20:23]
	ds_store_b128 v60, v[44:47] offset:64
	ds_store_b128 v59, v[8:11]
	ds_store_b128 v59, v[48:51] offset:64
	s_and_saveexec_b32 s1, s0
	s_cbranch_execz .LBB0_23
; %bb.22:
	v_mul_f64_e32 v[8:9], v[4:5], v[30:31]
	v_mul_f64_e32 v[10:11], v[6:7], v[30:31]
	s_delay_alu instid0(VALU_DEP_2) | instskip(NEXT) | instid1(VALU_DEP_2)
	v_fma_f64 v[6:7], v[6:7], v[28:29], v[8:9]
	v_fma_f64 v[4:5], v[4:5], v[28:29], -v[10:11]
	v_and_or_b32 v8, 0x3f8, v64, v65
	s_delay_alu instid0(VALU_DEP_1) | instskip(NEXT) | instid1(VALU_DEP_1)
	v_lshlrev_b32_e32 v8, 4, v8
	v_add3_u32 v8, 0, v8, v58
	v_add_f64_e64 v[6:7], v[2:3], -v[6:7]
	v_add_f64_e64 v[4:5], v[0:1], -v[4:5]
	s_delay_alu instid0(VALU_DEP_2) | instskip(NEXT) | instid1(VALU_DEP_2)
	v_fma_f64 v[2:3], v[2:3], 2.0, -v[6:7]
	v_fma_f64 v[0:1], v[0:1], 2.0, -v[4:5]
	ds_store_b128 v8, v[0:3]
	ds_store_b128 v8, v[4:7] offset:64
.LBB0_23:
	s_wait_alu 0xfffe
	s_or_b32 exec_lo, exec_lo, s1
	v_and_b32_e32 v28, 7, v55
	global_wb scope:SCOPE_SE
	s_wait_dscnt 0x0
	s_barrier_signal -1
	s_barrier_wait -1
	global_inv scope:SCOPE_SE
	v_mul_u32_u24_e32 v0, 10, v28
	s_mov_b32 s0, 0xf8bb580b
	s_mov_b32 s6, 0x8eee2c13
	;; [unrolled: 1-line block ×4, first 2 shown]
	v_lshlrev_b32_e32 v0, 4, v0
	s_mov_b32 s10, 0x43842ef
	s_mov_b32 s11, 0xbfefac9e
	;; [unrolled: 1-line block ×4, first 2 shown]
	s_clause 0x9
	global_load_b128 v[20:23], v0, s[4:5] offset:96
	global_load_b128 v[24:27], v0, s[4:5] offset:240
	;; [unrolled: 1-line block ×10, first 2 shown]
	ds_load_b128 v[45:48], v56 offset:1408
	ds_load_b128 v[0:3], v57
	ds_load_b128 v[59:62], v56 offset:14080
	ds_load_b128 v[63:66], v56 offset:2816
	;; [unrolled: 1-line block ×9, first 2 shown]
	s_mov_b32 s12, 0xfd768dbf
	s_mov_b32 s13, 0xbfd207e7
	;; [unrolled: 1-line block ×12, first 2 shown]
	s_wait_alu 0xfffe
	s_mov_b32 s24, s0
	s_mov_b32 s29, 0xbfc2375f
	;; [unrolled: 1-line block ×8, first 2 shown]
	global_wb scope:SCOPE_SE
	s_wait_loadcnt_dscnt 0x0
	s_barrier_signal -1
	s_barrier_wait -1
	global_inv scope:SCOPE_SE
	v_mul_f64_e32 v[49:50], v[47:48], v[22:23]
	v_mul_f64_e32 v[22:23], v[45:46], v[22:23]
	;; [unrolled: 1-line block ×19, first 2 shown]
	v_fma_f64 v[45:46], v[45:46], v[20:21], -v[49:50]
	v_fma_f64 v[47:48], v[47:48], v[20:21], v[22:23]
	v_fma_f64 v[6:7], v[61:62], v[24:25], v[95:96]
	v_fma_f64 v[10:11], v[59:60], v[24:25], -v[26:27]
	v_fma_f64 v[59:60], v[63:64], v[29:30], -v[97:98]
	v_fma_f64 v[29:30], v[65:66], v[29:30], v[31:32]
	v_fma_f64 v[24:25], v[67:68], v[33:34], -v[99:100]
	v_fma_f64 v[26:27], v[69:70], v[33:34], v[35:36]
	v_mul_f64_e32 v[49:50], v[81:82], v[18:19]
	v_fma_f64 v[20:21], v[77:78], v[41:42], v[103:104]
	v_fma_f64 v[22:23], v[75:76], v[41:42], -v[43:44]
	v_fma_f64 v[41:42], v[87:88], v[4:5], -v[115:116]
	v_fma_f64 v[4:5], v[89:90], v[4:5], v[117:118]
	v_fma_f64 v[14:15], v[73:74], v[37:38], v[101:102]
	v_fma_f64 v[18:19], v[71:72], v[37:38], -v[39:40]
	v_fma_f64 v[39:40], v[93:94], v[8:9], v[111:112]
	v_fma_f64 v[8:9], v[91:92], v[8:9], -v[113:114]
	v_fma_f64 v[37:38], v[83:84], v[12:13], -v[107:108]
	v_fma_f64 v[12:13], v[85:86], v[12:13], v[109:110]
	v_add_f64_e32 v[31:32], v[0:1], v[45:46]
	v_add_f64_e32 v[33:34], v[2:3], v[47:48]
	v_add_f64_e64 v[43:44], v[47:48], -v[6:7]
	v_add_f64_e32 v[47:48], v[47:48], v[6:7]
	v_fma_f64 v[35:36], v[79:80], v[16:17], -v[49:50]
	v_add_f64_e64 v[49:50], v[45:46], -v[10:11]
	v_fma_f64 v[16:17], v[81:82], v[16:17], v[105:106]
	v_add_f64_e64 v[65:66], v[26:27], -v[20:21]
	v_add_f64_e64 v[67:68], v[24:25], -v[22:23]
	v_add_f64_e32 v[69:70], v[24:25], v[22:23]
	v_add_f64_e32 v[71:72], v[26:27], v[20:21]
	v_add_f64_e64 v[61:62], v[29:30], -v[14:15]
	v_add_f64_e64 v[63:64], v[59:60], -v[18:19]
	v_add_f64_e32 v[45:46], v[45:46], v[10:11]
	v_add_f64_e32 v[77:78], v[37:38], v[41:42]
	v_add_f64_e64 v[81:82], v[12:13], -v[4:5]
	v_add_f64_e32 v[83:84], v[12:13], v[4:5]
	v_add_f64_e64 v[79:80], v[37:38], -v[41:42]
	v_add_f64_e32 v[31:32], v[31:32], v[59:60]
	v_add_f64_e32 v[33:34], v[33:34], v[29:30]
	v_mul_f64_e32 v[89:90], s[0:1], v[43:44]
	v_mul_f64_e32 v[93:94], s[6:7], v[43:44]
	;; [unrolled: 1-line block ×5, first 2 shown]
	v_add_f64_e32 v[59:60], v[59:60], v[18:19]
	v_add_f64_e32 v[29:30], v[29:30], v[14:15]
	v_mul_f64_e32 v[91:92], s[0:1], v[49:50]
	v_mul_f64_e32 v[95:96], s[6:7], v[49:50]
	;; [unrolled: 1-line block ×5, first 2 shown]
	v_add_f64_e64 v[73:74], v[16:17], -v[39:40]
	v_add_f64_e32 v[87:88], v[16:17], v[39:40]
	v_add_f64_e32 v[75:76], v[35:36], v[8:9]
	v_add_f64_e64 v[85:86], v[35:36], -v[8:9]
	v_mul_f64_e32 v[105:106], s[6:7], v[61:62]
	v_mul_f64_e32 v[107:108], s[6:7], v[63:64]
	;; [unrolled: 1-line block ×6, first 2 shown]
	s_wait_alu 0xfffe
	v_mul_f64_e32 v[63:64], s[24:25], v[63:64]
	v_mul_f64_e32 v[109:110], s[10:11], v[65:66]
	;; [unrolled: 1-line block ×14, first 2 shown]
	v_add_f64_e32 v[24:25], v[31:32], v[24:25]
	v_add_f64_e32 v[26:27], v[33:34], v[26:27]
	v_mul_f64_e32 v[31:32], s[2:3], v[61:62]
	v_mul_f64_e32 v[33:34], s[22:23], v[61:62]
	;; [unrolled: 1-line block ×3, first 2 shown]
	v_fma_f64 v[165:166], v[45:46], s[20:21], -v[93:94]
	v_fma_f64 v[93:94], v[45:46], s[20:21], v[93:94]
	v_fma_f64 v[169:170], v[45:46], s[28:29], -v[97:98]
	v_fma_f64 v[97:98], v[45:46], s[28:29], v[97:98]
	;; [unrolled: 2-line block ×3, first 2 shown]
	v_fma_f64 v[171:172], v[47:48], s[28:29], v[99:100]
	v_fma_f64 v[175:176], v[47:48], s[18:19], v[103:104]
	;; [unrolled: 1-line block ×3, first 2 shown]
	v_fma_f64 v[177:178], v[45:46], s[16:17], -v[43:44]
	v_fma_f64 v[43:44], v[45:46], s[16:17], v[43:44]
	v_fma_f64 v[95:96], v[47:48], s[20:21], -v[95:96]
	v_fma_f64 v[99:100], v[47:48], s[28:29], -v[99:100]
	;; [unrolled: 1-line block ×5, first 2 shown]
	v_fma_f64 v[113:114], v[59:60], s[28:29], v[113:114]
	v_fma_f64 v[191:192], v[29:30], s[16:17], v[117:118]
	v_mul_f64_e32 v[133:134], s[2:3], v[73:74]
	v_mul_f64_e32 v[135:136], s[30:31], v[73:74]
	;; [unrolled: 1-line block ×7, first 2 shown]
	v_fma_f64 v[181:182], v[69:70], s[28:29], v[109:110]
	v_fma_f64 v[193:194], v[69:70], s[20:21], -v[123:124]
	v_fma_f64 v[123:124], v[69:70], s[20:21], v[123:124]
	v_fma_f64 v[195:196], v[69:70], s[14:15], -v[125:126]
	;; [unrolled: 2-line block ×3, first 2 shown]
	v_fma_f64 v[65:66], v[69:70], s[18:19], v[65:66]
	v_mul_f64_e32 v[145:146], s[0:1], v[85:86]
	v_add_f64_e32 v[24:25], v[24:25], v[35:36]
	v_add_f64_e32 v[16:17], v[26:27], v[16:17]
	v_fma_f64 v[26:27], v[45:46], s[14:15], -v[89:90]
	v_fma_f64 v[35:36], v[47:48], s[14:15], v[91:92]
	v_fma_f64 v[89:90], v[45:46], s[14:15], v[89:90]
	v_fma_f64 v[91:92], v[47:48], s[14:15], -v[91:92]
	v_fma_f64 v[45:46], v[47:48], s[16:17], v[49:50]
	v_fma_f64 v[47:48], v[47:48], s[16:17], -v[49:50]
	;; [unrolled: 2-line block ×3, first 2 shown]
	v_fma_f64 v[183:184], v[59:60], s[18:19], -v[31:32]
	v_fma_f64 v[31:32], v[59:60], s[18:19], v[31:32]
	v_fma_f64 v[185:186], v[59:60], s[16:17], -v[33:34]
	v_fma_f64 v[33:34], v[59:60], s[16:17], v[33:34]
	;; [unrolled: 2-line block ×3, first 2 shown]
	v_fma_f64 v[61:62], v[29:30], s[20:21], v[107:108]
	v_fma_f64 v[107:108], v[29:30], s[18:19], v[115:116]
	v_add_f64_e32 v[165:166], v[0:1], v[165:166]
	v_add_f64_e32 v[167:168], v[2:3], v[167:168]
	;; [unrolled: 1-line block ×10, first 2 shown]
	v_fma_f64 v[115:116], v[29:30], s[18:19], -v[115:116]
	v_add_f64_e32 v[99:100], v[2:3], v[99:100]
	v_add_f64_e32 v[95:96], v[2:3], v[95:96]
	v_mul_f64_e32 v[147:148], s[12:13], v[85:86]
	v_mul_f64_e32 v[85:86], s[26:27], v[85:86]
	v_fma_f64 v[199:200], v[75:76], s[28:29], -v[135:136]
	v_mul_f64_e32 v[155:156], s[2:3], v[81:82]
	v_mul_f64_e32 v[161:162], s[2:3], v[79:80]
	v_fma_f64 v[201:202], v[75:76], s[14:15], -v[137:138]
	v_mul_f64_e32 v[157:158], s[26:27], v[81:82]
	v_add_f64_e32 v[24:25], v[24:25], v[37:38]
	v_add_f64_e32 v[12:13], v[16:17], v[12:13]
	;; [unrolled: 1-line block ×3, first 2 shown]
	v_fma_f64 v[37:38], v[29:30], s[28:29], v[119:120]
	v_add_f64_e32 v[89:90], v[0:1], v[89:90]
	v_add_f64_e32 v[91:92], v[2:3], v[91:92]
	v_fma_f64 v[16:17], v[29:30], s[16:17], -v[117:118]
	v_fma_f64 v[117:118], v[29:30], s[28:29], -v[119:120]
	v_fma_f64 v[119:120], v[29:30], s[14:15], v[63:64]
	v_add_f64_e32 v[45:46], v[2:3], v[45:46]
	v_fma_f64 v[29:30], v[29:30], s[14:15], -v[63:64]
	v_add_f64_e32 v[0:1], v[0:1], v[43:44]
	v_add_f64_e32 v[43:44], v[2:3], v[47:48]
	;; [unrolled: 1-line block ×4, first 2 shown]
	v_fma_f64 v[63:64], v[69:70], s[28:29], -v[109:110]
	v_fma_f64 v[109:110], v[69:70], s[16:17], -v[121:122]
	v_fma_f64 v[121:122], v[69:70], s[16:17], v[121:122]
	v_fma_f64 v[69:70], v[71:72], s[28:29], -v[111:112]
	v_fma_f64 v[35:36], v[71:72], s[16:17], -v[127:128]
	v_add_f64_e32 v[31:32], v[31:32], v[93:94]
	v_add_f64_e32 v[93:94], v[185:186], v[169:170]
	v_fma_f64 v[103:104], v[71:72], s[20:21], -v[129:130]
	v_add_f64_e32 v[33:34], v[33:34], v[97:98]
	v_add_f64_e32 v[97:98], v[187:188], v[173:174]
	v_fma_f64 v[111:112], v[71:72], s[28:29], v[111:112]
	v_add_f64_e32 v[101:102], v[113:114], v[101:102]
	v_add_f64_e32 v[113:114], v[189:190], v[177:178]
	v_mul_f64_e32 v[163:164], s[26:27], v[79:80]
	v_fma_f64 v[137:138], v[75:76], s[14:15], v[137:138]
	v_fma_f64 v[203:204], v[75:76], s[16:17], -v[139:140]
	v_mul_f64_e32 v[151:152], s[12:13], v[79:80]
	v_mul_f64_e32 v[81:82], s[10:11], v[81:82]
	;; [unrolled: 1-line block ×3, first 2 shown]
	v_fma_f64 v[139:140], v[75:76], s[16:17], v[139:140]
	v_fma_f64 v[135:136], v[75:76], s[28:29], v[135:136]
	v_add_f64_e32 v[24:25], v[24:25], v[41:42]
	v_add_f64_e32 v[4:5], v[12:13], v[4:5]
	v_fma_f64 v[12:13], v[71:72], s[16:17], v[127:128]
	v_add_f64_e32 v[26:27], v[105:106], v[26:27]
	v_add_f64_e32 v[49:50], v[49:50], v[89:90]
	;; [unrolled: 1-line block ×5, first 2 shown]
	v_fma_f64 v[41:42], v[71:72], s[20:21], v[129:130]
	v_add_f64_e32 v[107:108], v[191:192], v[171:172]
	v_fma_f64 v[127:128], v[71:72], s[14:15], v[131:132]
	v_add_f64_e32 v[37:38], v[37:38], v[175:176]
	v_fma_f64 v[129:130], v[71:72], s[14:15], -v[131:132]
	v_fma_f64 v[131:132], v[71:72], s[18:19], v[67:68]
	v_add_f64_e32 v[45:46], v[119:120], v[45:46]
	v_fma_f64 v[67:68], v[71:72], s[18:19], -v[67:68]
	v_add_f64_e32 v[0:1], v[59:60], v[0:1]
	v_add_f64_e32 v[29:30], v[29:30], v[43:44]
	;; [unrolled: 1-line block ×6, first 2 shown]
	v_fma_f64 v[59:60], v[87:88], s[18:19], -v[141:142]
	v_fma_f64 v[71:72], v[75:76], s[18:19], v[133:134]
	v_fma_f64 v[133:134], v[75:76], s[18:19], -v[133:134]
	v_fma_f64 v[95:96], v[87:88], s[14:15], v[145:146]
	v_fma_f64 v[115:116], v[87:88], s[16:17], v[147:148]
	v_add_f64_e32 v[33:34], v[123:124], v[33:34]
	v_fma_f64 v[119:120], v[87:88], s[20:21], v[85:86]
	v_fma_f64 v[85:86], v[87:88], s[20:21], -v[85:86]
	v_fma_f64 v[117:118], v[87:88], s[16:17], -v[147:148]
	;; [unrolled: 1-line block ×3, first 2 shown]
	v_add_f64_e32 v[31:32], v[121:122], v[31:32]
	v_fma_f64 v[61:62], v[87:88], s[18:19], v[141:142]
	v_fma_f64 v[145:146], v[77:78], s[14:15], -v[153:154]
	v_fma_f64 v[121:122], v[83:84], s[28:29], v[79:80]
	v_fma_f64 v[79:80], v[83:84], s[28:29], -v[79:80]
	v_fma_f64 v[141:142], v[83:84], s[16:17], -v[151:152]
	v_add_f64_e32 v[8:9], v[24:25], v[8:9]
	v_add_f64_e32 v[4:5], v[4:5], v[39:40]
	v_fma_f64 v[24:25], v[75:76], s[20:21], -v[73:74]
	v_fma_f64 v[39:40], v[75:76], s[20:21], v[73:74]
	v_fma_f64 v[73:74], v[87:88], s[28:29], v[143:144]
	v_add_f64_e32 v[69:70], v[69:70], v[89:90]
	v_add_f64_e32 v[26:27], v[63:64], v[26:27]
	;; [unrolled: 1-line block ×16, first 2 shown]
	v_fma_f64 v[75:76], v[87:88], s[28:29], -v[143:144]
	v_add_f64_e32 v[35:36], v[35:36], v[47:48]
	v_add_f64_e32 v[2:3], v[111:112], v[2:3]
	v_fma_f64 v[103:104], v[83:84], s[14:15], v[159:160]
	v_fma_f64 v[143:144], v[77:78], s[16:17], -v[149:150]
	v_fma_f64 v[107:108], v[83:84], s[18:19], v[161:162]
	v_fma_f64 v[47:48], v[77:78], s[18:19], v[155:156]
	v_fma_f64 v[65:66], v[77:78], s[20:21], -v[157:158]
	v_fma_f64 v[111:112], v[83:84], s[20:21], v[163:164]
	v_add_f64_e32 v[33:34], v[137:138], v[33:34]
	v_fma_f64 v[101:102], v[77:78], s[28:29], -v[81:82]
	v_fma_f64 v[87:88], v[77:78], s[16:17], v[149:150]
	v_fma_f64 v[67:68], v[77:78], s[20:21], v[157:158]
	v_fma_f64 v[105:106], v[83:84], s[14:15], -v[159:160]
	v_fma_f64 v[109:110], v[83:84], s[18:19], -v[161:162]
	;; [unrolled: 1-line block ×3, first 2 shown]
	v_add_f64_e32 v[31:32], v[135:136], v[31:32]
	v_add_f64_e32 v[8:9], v[8:9], v[22:23]
	;; [unrolled: 1-line block ×3, first 2 shown]
	v_fma_f64 v[22:23], v[77:78], s[18:19], -v[155:156]
	v_fma_f64 v[20:21], v[77:78], s[14:15], v[153:154]
	v_fma_f64 v[77:78], v[77:78], s[28:29], v[81:82]
	v_add_f64_e32 v[59:60], v[59:60], v[69:70]
	v_add_f64_e32 v[26:27], v[133:134], v[26:27]
	;; [unrolled: 1-line block ×13, first 2 shown]
	v_fma_f64 v[81:82], v[83:84], s[16:17], v[151:152]
	v_add_f64_e32 v[83:84], v[139:140], v[93:94]
	v_add_f64_e32 v[91:92], v[117:118], v[43:44]
	;; [unrolled: 1-line block ×29, first 2 shown]
	v_lshrrev_b32_e32 v8, 3, v55
	s_delay_alu instid0(VALU_DEP_1) | instskip(NEXT) | instid1(VALU_DEP_1)
	v_mul_u32_u24_e32 v8, 0x58, v8
	v_or_b32_e32 v8, v8, v28
	s_delay_alu instid0(VALU_DEP_1) | instskip(NEXT) | instid1(VALU_DEP_1)
	v_lshlrev_b32_e32 v8, 4, v8
	v_add3_u32 v8, 0, v8, v58
	ds_store_b128 v8, v[16:19] offset:256
	ds_store_b128 v8, v[24:27] offset:384
	;; [unrolled: 1-line block ×10, first 2 shown]
	ds_store_b128 v8, v[4:7]
	global_wb scope:SCOPE_SE
	s_wait_dscnt 0x0
	s_barrier_signal -1
	s_barrier_wait -1
	global_inv scope:SCOPE_SE
	s_and_saveexec_b32 s33, vcc_lo
	s_cbranch_execz .LBB0_25
; %bb.24:
	v_mul_u32_u24_e32 v0, 10, v55
	s_delay_alu instid0(VALU_DEP_1)
	v_lshlrev_b32_e32 v0, 4, v0
	s_clause 0x9
	global_load_b128 v[32:35], v0, s[4:5] offset:1376
	global_load_b128 v[16:19], v0, s[4:5] offset:1440
	;; [unrolled: 1-line block ×10, first 2 shown]
	ds_load_b128 v[44:47], v56 offset:1408
	ds_load_b128 v[0:3], v57
	s_mov_b32 s5, 0x3fe82f19
	s_mov_b32 s4, s2
	s_wait_loadcnt_dscnt 0x901
	v_mul_f64_e32 v[50:51], v[32:33], v[46:47]
	v_mul_f64_e32 v[89:90], v[34:35], v[46:47]
	ds_load_b128 v[46:49], v56 offset:7040
	ds_load_b128 v[57:60], v56 offset:8448
	;; [unrolled: 1-line block ×9, first 2 shown]
	s_wait_loadcnt_dscnt 0x808
	v_mul_f64_e32 v[55:56], v[16:17], v[48:49]
	s_wait_loadcnt_dscnt 0x707
	v_mul_f64_e32 v[91:92], v[12:13], v[59:60]
	v_mul_f64_e32 v[48:49], v[18:19], v[48:49]
	s_wait_loadcnt_dscnt 0x505
	v_mul_f64_e32 v[95:96], v[8:9], v[67:68]
	s_wait_loadcnt_dscnt 0x404
	;; [unrolled: 2-line block ×6, first 2 shown]
	v_mul_f64_e32 v[105:106], v[40:41], v[87:88]
	v_mul_f64_e32 v[79:80], v[30:31], v[79:80]
	;; [unrolled: 1-line block ×10, first 2 shown]
	v_fma_f64 v[50:51], v[34:35], v[44:45], v[50:51]
	v_fma_f64 v[44:45], v[44:45], v[32:33], -v[89:90]
	v_fma_f64 v[34:35], v[18:19], v[46:47], v[55:56]
	v_fma_f64 v[32:33], v[14:15], v[57:58], v[91:92]
	v_fma_f64 v[16:17], v[46:47], v[16:17], -v[48:49]
	v_fma_f64 v[18:19], v[10:11], v[65:66], v[95:96]
	v_fma_f64 v[26:27], v[26:27], v[69:70], v[97:98]
	;; [unrolled: 1-line block ×6, first 2 shown]
	v_fma_f64 v[28:29], v[77:78], v[28:29], -v[79:80]
	v_fma_f64 v[12:13], v[57:58], v[12:13], -v[59:60]
	v_fma_f64 v[8:9], v[65:66], v[8:9], -v[67:68]
	v_fma_f64 v[24:25], v[69:70], v[24:25], -v[71:72]
	v_fma_f64 v[4:5], v[73:74], v[4:5], -v[75:76]
	v_fma_f64 v[36:37], v[81:82], v[36:37], -v[83:84]
	v_fma_f64 v[40:41], v[85:86], v[40:41], -v[87:88]
	v_fma_f64 v[22:23], v[22:23], v[61:62], v[93:94]
	v_fma_f64 v[20:21], v[61:62], v[20:21], -v[63:64]
	v_add_f64_e32 v[38:39], v[2:3], v[50:51]
	v_add_f64_e32 v[42:43], v[44:45], v[0:1]
	;; [unrolled: 1-line block ×3, first 2 shown]
	v_add_f64_e64 v[61:62], v[34:35], -v[32:33]
	v_add_f64_e32 v[55:56], v[26:27], v[14:15]
	v_add_f64_e64 v[65:66], v[26:27], -v[14:15]
	v_add_f64_e32 v[57:58], v[30:31], v[10:11]
	;; [unrolled: 2-line block ×6, first 2 shown]
	v_add_f64_e32 v[48:49], v[22:23], v[18:19]
	v_add_f64_e64 v[63:64], v[22:23], -v[18:19]
	v_add_f64_e64 v[69:70], v[20:21], -v[8:9]
	v_add_f64_e32 v[79:80], v[20:21], v[8:9]
	v_add_f64_e64 v[73:74], v[28:29], -v[36:37]
	v_add_f64_e32 v[30:31], v[30:31], v[38:39]
	v_add_f64_e32 v[38:39], v[28:29], v[42:43]
	;; [unrolled: 1-line block ×3, first 2 shown]
	v_add_f64_e64 v[42:43], v[16:17], -v[12:13]
	v_mul_f64_e32 v[103:104], s[20:21], v[46:47]
	v_mul_f64_e32 v[93:94], s[10:11], v[61:62]
	;; [unrolled: 1-line block ×23, first 2 shown]
	v_add_f64_e32 v[26:27], v[26:27], v[30:31]
	v_add_f64_e32 v[24:25], v[24:25], v[38:39]
	v_mul_f64_e32 v[38:39], s[28:29], v[57:58]
	v_mul_f64_e32 v[57:58], s[20:21], v[57:58]
	;; [unrolled: 1-line block ×20, first 2 shown]
	v_fma_f64 v[163:164], v[28:29], s[14:15], v[99:100]
	v_fma_f64 v[159:160], v[75:76], s[22:23], v[91:92]
	;; [unrolled: 1-line block ×4, first 2 shown]
	v_fma_f64 v[101:102], v[44:45], s[16:17], -v[101:102]
	v_fma_f64 v[167:168], v[75:76], s[4:5], v[107:108]
	v_fma_f64 v[169:170], v[44:45], s[18:19], v[117:118]
	v_fma_f64 v[107:108], v[75:76], s[2:3], v[107:108]
	v_fma_f64 v[117:118], v[44:45], s[18:19], -v[117:118]
	v_fma_f64 v[171:172], v[75:76], s[30:31], v[123:124]
	v_fma_f64 v[123:124], v[75:76], s[10:11], v[123:124]
	;; [unrolled: 1-line block ×5, first 2 shown]
	v_fma_f64 v[133:134], v[44:45], s[20:21], -v[133:134]
	v_fma_f64 v[173:174], v[44:45], s[28:29], v[125:126]
	v_add_f64_e32 v[22:23], v[22:23], v[26:27]
	v_add_f64_e32 v[20:21], v[20:21], v[24:25]
	v_fma_f64 v[125:126], v[44:45], s[28:29], -v[125:126]
	v_fma_f64 v[179:180], v[75:76], s[24:25], v[59:60]
	v_fma_f64 v[181:182], v[44:45], s[14:15], v[50:51]
	;; [unrolled: 1-line block ×3, first 2 shown]
	v_fma_f64 v[44:45], v[44:45], s[14:15], -v[50:51]
	v_mul_f64_e32 v[26:27], s[2:3], v[63:64]
	v_fma_f64 v[63:64], v[73:74], s[0:1], v[89:90]
	v_fma_f64 v[89:90], v[73:74], s[24:25], v[89:90]
	v_fma_f64 v[50:51], v[28:29], s[14:15], -v[99:100]
	v_fma_f64 v[99:100], v[73:74], s[10:11], v[38:39]
	v_fma_f64 v[185:186], v[28:29], s[28:29], v[115:116]
	;; [unrolled: 1-line block ×8, first 2 shown]
	v_fma_f64 v[141:142], v[28:29], s[16:17], -v[141:142]
	v_fma_f64 v[197:198], v[28:29], s[20:21], v[67:68]
	v_fma_f64 v[75:76], v[71:72], s[24:25], v[30:31]
	;; [unrolled: 1-line block ×5, first 2 shown]
	v_add_f64_e32 v[91:92], v[2:3], v[91:92]
	v_add_f64_e32 v[101:102], v[0:1], v[101:102]
	v_mul_f64_e32 v[155:156], s[24:25], v[61:62]
	v_mul_f64_e32 v[24:25], s[12:13], v[61:62]
	v_add_f64_e32 v[107:108], v[2:3], v[107:108]
	v_add_f64_e32 v[117:118], v[0:1], v[117:118]
	v_fma_f64 v[61:62], v[71:72], s[4:5], v[87:88]
	v_add_f64_e32 v[123:124], v[2:3], v[123:124]
	v_fma_f64 v[161:162], v[81:82], s[18:19], v[97:98]
	v_fma_f64 v[87:88], v[71:72], s[2:3], v[87:88]
	v_add_f64_e32 v[131:132], v[2:3], v[131:132]
	v_add_f64_e32 v[133:134], v[0:1], v[133:134]
	v_fma_f64 v[97:98], v[81:82], s[18:19], -v[97:98]
	v_add_f64_e32 v[22:23], v[34:35], v[22:23]
	v_add_f64_e32 v[16:17], v[16:17], v[20:21]
	v_fma_f64 v[34:35], v[28:29], s[28:29], -v[115:116]
	v_fma_f64 v[115:116], v[73:74], s[12:13], v[129:130]
	v_fma_f64 v[129:130], v[73:74], s[22:23], v[129:130]
	v_fma_f64 v[73:74], v[28:29], s[18:19], -v[151:152]
	v_fma_f64 v[151:152], v[28:29], s[18:19], v[151:152]
	v_fma_f64 v[28:29], v[28:29], s[20:21], -v[67:68]
	v_add_f64_e32 v[67:68], v[2:3], v[159:160]
	v_add_f64_e32 v[159:160], v[0:1], v[165:166]
	v_add_f64_e32 v[165:166], v[2:3], v[167:168]
	v_add_f64_e32 v[167:168], v[0:1], v[169:170]
	v_add_f64_e32 v[169:170], v[2:3], v[171:172]
	v_add_f64_e32 v[125:126], v[0:1], v[125:126]
	v_add_f64_e32 v[171:172], v[0:1], v[173:174]
	v_add_f64_e32 v[173:174], v[2:3], v[175:176]
	v_add_f64_e32 v[175:176], v[0:1], v[177:178]
	v_add_f64_e32 v[177:178], v[2:3], v[179:180]
	v_add_f64_e32 v[2:3], v[2:3], v[59:60]
	v_fma_f64 v[20:21], v[81:82], s[14:15], -v[113:114]
	v_fma_f64 v[113:114], v[71:72], s[6:7], v[127:128]
	v_fma_f64 v[127:128], v[71:72], s[26:27], v[127:128]
	v_fma_f64 v[59:60], v[81:82], s[20:21], -v[139:140]
	v_fma_f64 v[139:140], v[81:82], s[16:17], -v[149:150]
	v_fma_f64 v[191:192], v[71:72], s[12:13], v[145:146]
	v_add_f64_e32 v[89:90], v[89:90], v[91:92]
	v_add_f64_e32 v[50:51], v[50:51], v[101:102]
	v_mul_f64_e32 v[119:120], s[18:19], v[46:47]
	v_mul_f64_e32 v[143:144], s[14:15], v[46:47]
	v_add_f64_e32 v[38:39], v[38:39], v[107:108]
	v_mul_f64_e32 v[83:84], s[28:29], v[46:47]
	v_mul_f64_e32 v[46:47], s[16:17], v[46:47]
	v_fma_f64 v[179:180], v[77:78], s[28:29], v[93:94]
	v_fma_f64 v[93:94], v[77:78], s[28:29], -v[93:94]
	v_add_f64_e32 v[22:23], v[32:33], v[22:23]
	v_add_f64_e32 v[12:13], v[12:13], v[16:17]
	;; [unrolled: 1-line block ×4, first 2 shown]
	v_fma_f64 v[32:33], v[71:72], s[22:23], v[145:146]
	v_add_f64_e32 v[34:35], v[34:35], v[117:118]
	v_add_f64_e32 v[107:108], v[129:130], v[123:124]
	;; [unrolled: 1-line block ×11, first 2 shown]
	v_fma_f64 v[44:45], v[71:72], s[30:31], v[55:56]
	v_fma_f64 v[55:56], v[71:72], s[10:11], v[55:56]
	;; [unrolled: 1-line block ×3, first 2 shown]
	v_add_f64_e32 v[125:126], v[193:194], v[173:174]
	v_add_f64_e32 v[129:130], v[151:152], v[175:176]
	v_fma_f64 v[145:146], v[81:82], s[28:29], v[65:66]
	v_fma_f64 v[65:66], v[81:82], s[28:29], -v[65:66]
	v_add_f64_e32 v[2:3], v[57:58], v[2:3]
	v_add_f64_e32 v[131:132], v[195:196], v[177:178]
	v_fma_f64 v[149:150], v[69:70], s[6:7], v[85:86]
	v_fma_f64 v[85:86], v[69:70], s[26:27], v[85:86]
	v_fma_f64 v[57:58], v[79:80], s[16:17], -v[111:112]
	v_fma_f64 v[133:134], v[79:80], s[14:15], -v[137:138]
	v_fma_f64 v[147:148], v[69:70], s[30:31], v[153:154]
	v_fma_f64 v[151:152], v[79:80], s[28:29], -v[157:158]
	v_add_f64_e32 v[30:31], v[30:31], v[38:39]
	v_fma_f64 v[181:182], v[79:80], s[20:21], v[95:96]
	v_fma_f64 v[95:96], v[79:80], s[20:21], -v[95:96]
	v_add_f64_e32 v[50:51], v[97:98], v[50:51]
	v_fma_f64 v[141:142], v[79:80], s[28:29], v[157:158]
	v_fma_f64 v[157:158], v[79:80], s[18:19], v[26:27]
	v_fma_f64 v[26:27], v[79:80], s[18:19], -v[26:27]
	v_add_f64_e32 v[18:19], v[18:19], v[22:23]
	v_add_f64_e32 v[8:9], v[8:9], v[12:13]
	;; [unrolled: 1-line block ×4, first 2 shown]
	v_fma_f64 v[16:17], v[69:70], s[22:23], v[105:106]
	v_fma_f64 v[22:23], v[79:80], s[16:17], v[111:112]
	;; [unrolled: 1-line block ×9, first 2 shown]
	v_add_f64_e32 v[69:70], v[75:76], v[91:92]
	v_add_f64_e32 v[75:76], v[183:184], v[99:100]
	;; [unrolled: 1-line block ×16, first 2 shown]
	v_fma_f64 v[55:56], v[42:43], s[26:27], v[103:104]
	v_fma_f64 v[89:90], v[42:43], s[4:5], v[119:120]
	;; [unrolled: 1-line block ×6, first 2 shown]
	v_fma_f64 v[99:100], v[77:78], s[18:19], -v[135:136]
	v_fma_f64 v[101:102], v[42:43], s[0:1], v[143:144]
	v_fma_f64 v[113:114], v[42:43], s[22:23], v[46:47]
	v_add_f64_e32 v[14:15], v[14:15], v[18:19]
	v_add_f64_e32 v[4:5], v[4:5], v[8:9]
	;; [unrolled: 1-line block ×4, first 2 shown]
	v_fma_f64 v[12:13], v[42:43], s[6:7], v[103:104]
	v_fma_f64 v[18:19], v[77:78], s[20:21], v[109:110]
	v_fma_f64 v[65:66], v[77:78], s[20:21], -v[109:110]
	v_fma_f64 v[109:110], v[77:78], s[14:15], -v[155:156]
	v_add_f64_e32 v[28:29], v[28:29], v[30:31]
	v_fma_f64 v[115:116], v[77:78], s[16:17], v[24:25]
	v_fma_f64 v[42:43], v[42:43], s[12:13], v[46:47]
	v_fma_f64 v[46:47], v[77:78], s[16:17], -v[24:25]
	v_add_f64_e32 v[50:51], v[95:96], v[50:51]
	v_add_f64_e32 v[16:17], v[16:17], v[69:70]
	;; [unrolled: 1-line block ×12, first 2 shown]
	v_fma_f64 v[91:92], v[77:78], s[18:19], v[135:136]
	v_add_f64_e32 v[59:60], v[111:112], v[79:80]
	v_fma_f64 v[103:104], v[77:78], s[14:15], v[155:156]
	v_add_f64_e32 v[67:68], v[137:138], v[87:88]
	v_add_f64_e32 v[69:70], v[141:142], v[71:72]
	;; [unrolled: 1-line block ×12, first 2 shown]
	v_mov_b32_e32 v55, 0
	v_add_f64_e32 v[22:23], v[89:90], v[30:31]
	v_add_f64_e32 v[30:31], v[107:108], v[32:33]
	;; [unrolled: 1-line block ×14, first 2 shown]
	v_lshlrev_b64_e32 v[44:45], 4, v[54:55]
	v_add_f64_e32 v[6:7], v[6:7], v[71:72]
	v_add_f64_e32 v[4:5], v[40:41], v[4:5]
	v_add_f64_e32 v[40:41], v[46:47], v[36:37]
	v_add_f64_e32 v[36:37], v[115:116], v[73:74]
	v_add_co_u32 v46, vcc_lo, s8, v52
	s_wait_alu 0xfffd
	v_add_co_ci_u32_e32 v47, vcc_lo, s9, v53, vcc_lo
	s_delay_alu instid0(VALU_DEP_2) | instskip(SKIP_1) | instid1(VALU_DEP_2)
	v_add_co_u32 v44, vcc_lo, v46, v44
	s_wait_alu 0xfffd
	v_add_co_ci_u32_e32 v45, vcc_lo, v47, v45, vcc_lo
	s_clause 0xa
	global_store_b128 v[44:45], v[28:31], off offset:2816
	global_store_b128 v[44:45], v[24:27], off offset:4224
	;; [unrolled: 1-line block ×8, first 2 shown]
	global_store_b128 v[44:45], v[4:7], off
	global_store_b128 v[44:45], v[40:43], off offset:1408
	global_store_b128 v[44:45], v[36:39], off offset:14080
.LBB0_25:
	s_nop 0
	s_sendmsg sendmsg(MSG_DEALLOC_VGPRS)
	s_endpgm
	.section	.rodata,"a",@progbits
	.p2align	6, 0x0
	.amdhsa_kernel fft_rtc_fwd_len968_factors_2_2_2_11_11_wgs_176_tpt_88_dp_ip_CI_unitstride_sbrr_dirReg
		.amdhsa_group_segment_fixed_size 0
		.amdhsa_private_segment_fixed_size 0
		.amdhsa_kernarg_size 88
		.amdhsa_user_sgpr_count 2
		.amdhsa_user_sgpr_dispatch_ptr 0
		.amdhsa_user_sgpr_queue_ptr 0
		.amdhsa_user_sgpr_kernarg_segment_ptr 1
		.amdhsa_user_sgpr_dispatch_id 0
		.amdhsa_user_sgpr_private_segment_size 0
		.amdhsa_wavefront_size32 1
		.amdhsa_uses_dynamic_stack 0
		.amdhsa_enable_private_segment 0
		.amdhsa_system_sgpr_workgroup_id_x 1
		.amdhsa_system_sgpr_workgroup_id_y 0
		.amdhsa_system_sgpr_workgroup_id_z 0
		.amdhsa_system_sgpr_workgroup_info 0
		.amdhsa_system_vgpr_workitem_id 0
		.amdhsa_next_free_vgpr 205
		.amdhsa_next_free_sgpr 34
		.amdhsa_reserve_vcc 1
		.amdhsa_float_round_mode_32 0
		.amdhsa_float_round_mode_16_64 0
		.amdhsa_float_denorm_mode_32 3
		.amdhsa_float_denorm_mode_16_64 3
		.amdhsa_fp16_overflow 0
		.amdhsa_workgroup_processor_mode 1
		.amdhsa_memory_ordered 1
		.amdhsa_forward_progress 0
		.amdhsa_round_robin_scheduling 0
		.amdhsa_exception_fp_ieee_invalid_op 0
		.amdhsa_exception_fp_denorm_src 0
		.amdhsa_exception_fp_ieee_div_zero 0
		.amdhsa_exception_fp_ieee_overflow 0
		.amdhsa_exception_fp_ieee_underflow 0
		.amdhsa_exception_fp_ieee_inexact 0
		.amdhsa_exception_int_div_zero 0
	.end_amdhsa_kernel
	.text
.Lfunc_end0:
	.size	fft_rtc_fwd_len968_factors_2_2_2_11_11_wgs_176_tpt_88_dp_ip_CI_unitstride_sbrr_dirReg, .Lfunc_end0-fft_rtc_fwd_len968_factors_2_2_2_11_11_wgs_176_tpt_88_dp_ip_CI_unitstride_sbrr_dirReg
                                        ; -- End function
	.section	.AMDGPU.csdata,"",@progbits
; Kernel info:
; codeLenInByte = 8508
; NumSgprs: 36
; NumVgprs: 205
; ScratchSize: 0
; MemoryBound: 1
; FloatMode: 240
; IeeeMode: 1
; LDSByteSize: 0 bytes/workgroup (compile time only)
; SGPRBlocks: 4
; VGPRBlocks: 25
; NumSGPRsForWavesPerEU: 36
; NumVGPRsForWavesPerEU: 205
; Occupancy: 7
; WaveLimiterHint : 1
; COMPUTE_PGM_RSRC2:SCRATCH_EN: 0
; COMPUTE_PGM_RSRC2:USER_SGPR: 2
; COMPUTE_PGM_RSRC2:TRAP_HANDLER: 0
; COMPUTE_PGM_RSRC2:TGID_X_EN: 1
; COMPUTE_PGM_RSRC2:TGID_Y_EN: 0
; COMPUTE_PGM_RSRC2:TGID_Z_EN: 0
; COMPUTE_PGM_RSRC2:TIDIG_COMP_CNT: 0
	.text
	.p2alignl 7, 3214868480
	.fill 96, 4, 3214868480
	.type	__hip_cuid_d85b16dc9b324407,@object ; @__hip_cuid_d85b16dc9b324407
	.section	.bss,"aw",@nobits
	.globl	__hip_cuid_d85b16dc9b324407
__hip_cuid_d85b16dc9b324407:
	.byte	0                               ; 0x0
	.size	__hip_cuid_d85b16dc9b324407, 1

	.ident	"AMD clang version 19.0.0git (https://github.com/RadeonOpenCompute/llvm-project roc-6.4.0 25133 c7fe45cf4b819c5991fe208aaa96edf142730f1d)"
	.section	".note.GNU-stack","",@progbits
	.addrsig
	.addrsig_sym __hip_cuid_d85b16dc9b324407
	.amdgpu_metadata
---
amdhsa.kernels:
  - .args:
      - .actual_access:  read_only
        .address_space:  global
        .offset:         0
        .size:           8
        .value_kind:     global_buffer
      - .offset:         8
        .size:           8
        .value_kind:     by_value
      - .actual_access:  read_only
        .address_space:  global
        .offset:         16
        .size:           8
        .value_kind:     global_buffer
      - .actual_access:  read_only
        .address_space:  global
        .offset:         24
        .size:           8
        .value_kind:     global_buffer
      - .offset:         32
        .size:           8
        .value_kind:     by_value
      - .actual_access:  read_only
        .address_space:  global
        .offset:         40
        .size:           8
        .value_kind:     global_buffer
      - .actual_access:  read_only
        .address_space:  global
        .offset:         48
        .size:           8
        .value_kind:     global_buffer
      - .offset:         56
        .size:           4
        .value_kind:     by_value
      - .actual_access:  read_only
        .address_space:  global
        .offset:         64
        .size:           8
        .value_kind:     global_buffer
      - .actual_access:  read_only
        .address_space:  global
        .offset:         72
        .size:           8
        .value_kind:     global_buffer
      - .address_space:  global
        .offset:         80
        .size:           8
        .value_kind:     global_buffer
    .group_segment_fixed_size: 0
    .kernarg_segment_align: 8
    .kernarg_segment_size: 88
    .language:       OpenCL C
    .language_version:
      - 2
      - 0
    .max_flat_workgroup_size: 176
    .name:           fft_rtc_fwd_len968_factors_2_2_2_11_11_wgs_176_tpt_88_dp_ip_CI_unitstride_sbrr_dirReg
    .private_segment_fixed_size: 0
    .sgpr_count:     36
    .sgpr_spill_count: 0
    .symbol:         fft_rtc_fwd_len968_factors_2_2_2_11_11_wgs_176_tpt_88_dp_ip_CI_unitstride_sbrr_dirReg.kd
    .uniform_work_group_size: 1
    .uses_dynamic_stack: false
    .vgpr_count:     205
    .vgpr_spill_count: 0
    .wavefront_size: 32
    .workgroup_processor_mode: 1
amdhsa.target:   amdgcn-amd-amdhsa--gfx1201
amdhsa.version:
  - 1
  - 2
...

	.end_amdgpu_metadata
